;; amdgpu-corpus repo=ROCm/rocFFT kind=compiled arch=gfx1030 opt=O3
	.text
	.amdgcn_target "amdgcn-amd-amdhsa--gfx1030"
	.amdhsa_code_object_version 6
	.protected	fft_rtc_fwd_len375_factors_5_5_5_3_wgs_125_tpt_25_halfLds_sp_op_CI_CI_sbrr_dirReg ; -- Begin function fft_rtc_fwd_len375_factors_5_5_5_3_wgs_125_tpt_25_halfLds_sp_op_CI_CI_sbrr_dirReg
	.globl	fft_rtc_fwd_len375_factors_5_5_5_3_wgs_125_tpt_25_halfLds_sp_op_CI_CI_sbrr_dirReg
	.p2align	8
	.type	fft_rtc_fwd_len375_factors_5_5_5_3_wgs_125_tpt_25_halfLds_sp_op_CI_CI_sbrr_dirReg,@function
fft_rtc_fwd_len375_factors_5_5_5_3_wgs_125_tpt_25_halfLds_sp_op_CI_CI_sbrr_dirReg: ; @fft_rtc_fwd_len375_factors_5_5_5_3_wgs_125_tpt_25_halfLds_sp_op_CI_CI_sbrr_dirReg
; %bb.0:
	s_clause 0x1
	s_load_dwordx4 s[16:19], s[4:5], 0x18
	s_load_dwordx4 s[8:11], s[4:5], 0x0
	v_mul_u32_u24_e32 v1, 0xa3e, v0
	v_mov_b32_e32 v5, 0
	v_mov_b32_e32 v20, 0
	v_mov_b32_e32 v21, 0
	s_load_dwordx4 s[12:15], s[4:5], 0x58
	s_waitcnt lgkmcnt(0)
	s_load_dwordx2 s[20:21], s[16:17], 0x0
	s_load_dwordx2 s[2:3], s[18:19], 0x0
	v_lshrrev_b32_e32 v1, 16, v1
	v_cmp_lt_u64_e64 s0, s[10:11], 2
	v_mad_u64_u32 v[9:10], null, s6, 5, v[1:2]
	v_mov_b32_e32 v10, v5
	v_mov_b32_e32 v1, v20
	;; [unrolled: 1-line block ×3, first 2 shown]
	s_and_b32 vcc_lo, exec_lo, s0
	v_mov_b32_e32 v3, v9
	v_mov_b32_e32 v4, v10
	s_cbranch_vccnz .LBB0_8
; %bb.1:
	s_load_dwordx2 s[0:1], s[4:5], 0x10
	v_mov_b32_e32 v20, 0
	v_mov_b32_e32 v21, 0
	s_add_u32 s6, s18, 8
	v_mov_b32_e32 v7, v9
	s_addc_u32 s7, s19, 0
	v_mov_b32_e32 v1, v20
	v_mov_b32_e32 v8, v10
	s_add_u32 s22, s16, 8
	v_mov_b32_e32 v2, v21
	s_addc_u32 s23, s17, 0
	s_mov_b64 s[26:27], 1
	s_waitcnt lgkmcnt(0)
	s_add_u32 s24, s0, 8
	s_addc_u32 s25, s1, 0
.LBB0_2:                                ; =>This Inner Loop Header: Depth=1
	s_load_dwordx2 s[28:29], s[24:25], 0x0
                                        ; implicit-def: $vgpr3_vgpr4
	s_mov_b32 s0, exec_lo
	s_waitcnt lgkmcnt(0)
	v_or_b32_e32 v6, s29, v8
	v_cmpx_ne_u64_e32 0, v[5:6]
	s_xor_b32 s1, exec_lo, s0
	s_cbranch_execz .LBB0_4
; %bb.3:                                ;   in Loop: Header=BB0_2 Depth=1
	v_cvt_f32_u32_e32 v3, s28
	v_cvt_f32_u32_e32 v4, s29
	s_sub_u32 s0, 0, s28
	s_subb_u32 s30, 0, s29
	v_fmac_f32_e32 v3, 0x4f800000, v4
	v_rcp_f32_e32 v3, v3
	v_mul_f32_e32 v3, 0x5f7ffffc, v3
	v_mul_f32_e32 v4, 0x2f800000, v3
	v_trunc_f32_e32 v4, v4
	v_fmac_f32_e32 v3, 0xcf800000, v4
	v_cvt_u32_f32_e32 v4, v4
	v_cvt_u32_f32_e32 v3, v3
	v_mul_lo_u32 v6, s0, v4
	v_mul_hi_u32 v10, s0, v3
	v_mul_lo_u32 v11, s30, v3
	v_add_nc_u32_e32 v6, v10, v6
	v_mul_lo_u32 v10, s0, v3
	v_add_nc_u32_e32 v6, v6, v11
	v_mul_hi_u32 v11, v3, v10
	v_mul_lo_u32 v12, v3, v6
	v_mul_hi_u32 v13, v3, v6
	v_mul_hi_u32 v14, v4, v10
	v_mul_lo_u32 v10, v4, v10
	v_mul_hi_u32 v15, v4, v6
	v_mul_lo_u32 v6, v4, v6
	v_add_co_u32 v11, vcc_lo, v11, v12
	v_add_co_ci_u32_e32 v12, vcc_lo, 0, v13, vcc_lo
	v_add_co_u32 v10, vcc_lo, v11, v10
	v_add_co_ci_u32_e32 v10, vcc_lo, v12, v14, vcc_lo
	v_add_co_ci_u32_e32 v11, vcc_lo, 0, v15, vcc_lo
	v_add_co_u32 v6, vcc_lo, v10, v6
	v_add_co_ci_u32_e32 v10, vcc_lo, 0, v11, vcc_lo
	v_add_co_u32 v3, vcc_lo, v3, v6
	v_add_co_ci_u32_e32 v4, vcc_lo, v4, v10, vcc_lo
	v_mul_hi_u32 v6, s0, v3
	v_mul_lo_u32 v11, s30, v3
	v_mul_lo_u32 v10, s0, v4
	v_add_nc_u32_e32 v6, v6, v10
	v_mul_lo_u32 v10, s0, v3
	v_add_nc_u32_e32 v6, v6, v11
	v_mul_hi_u32 v11, v3, v10
	v_mul_lo_u32 v12, v3, v6
	v_mul_hi_u32 v13, v3, v6
	v_mul_hi_u32 v14, v4, v10
	v_mul_lo_u32 v10, v4, v10
	v_mul_hi_u32 v15, v4, v6
	v_mul_lo_u32 v6, v4, v6
	v_add_co_u32 v11, vcc_lo, v11, v12
	v_add_co_ci_u32_e32 v12, vcc_lo, 0, v13, vcc_lo
	v_add_co_u32 v10, vcc_lo, v11, v10
	v_add_co_ci_u32_e32 v10, vcc_lo, v12, v14, vcc_lo
	v_add_co_ci_u32_e32 v11, vcc_lo, 0, v15, vcc_lo
	v_add_co_u32 v6, vcc_lo, v10, v6
	v_add_co_ci_u32_e32 v10, vcc_lo, 0, v11, vcc_lo
	v_add_co_u32 v6, vcc_lo, v3, v6
	v_add_co_ci_u32_e32 v12, vcc_lo, v4, v10, vcc_lo
	v_mul_hi_u32 v14, v7, v6
	v_mad_u64_u32 v[10:11], null, v8, v6, 0
	v_mad_u64_u32 v[3:4], null, v7, v12, 0
	v_mad_u64_u32 v[12:13], null, v8, v12, 0
	v_add_co_u32 v3, vcc_lo, v14, v3
	v_add_co_ci_u32_e32 v4, vcc_lo, 0, v4, vcc_lo
	v_add_co_u32 v3, vcc_lo, v3, v10
	v_add_co_ci_u32_e32 v3, vcc_lo, v4, v11, vcc_lo
	v_add_co_ci_u32_e32 v4, vcc_lo, 0, v13, vcc_lo
	v_add_co_u32 v6, vcc_lo, v3, v12
	v_add_co_ci_u32_e32 v10, vcc_lo, 0, v4, vcc_lo
	v_mul_lo_u32 v11, s29, v6
	v_mad_u64_u32 v[3:4], null, s28, v6, 0
	v_mul_lo_u32 v12, s28, v10
	v_sub_co_u32 v3, vcc_lo, v7, v3
	v_add3_u32 v4, v4, v12, v11
	v_sub_nc_u32_e32 v11, v8, v4
	v_subrev_co_ci_u32_e64 v11, s0, s29, v11, vcc_lo
	v_add_co_u32 v12, s0, v6, 2
	v_add_co_ci_u32_e64 v13, s0, 0, v10, s0
	v_sub_co_u32 v14, s0, v3, s28
	v_sub_co_ci_u32_e32 v4, vcc_lo, v8, v4, vcc_lo
	v_subrev_co_ci_u32_e64 v11, s0, 0, v11, s0
	v_cmp_le_u32_e32 vcc_lo, s28, v14
	v_cmp_eq_u32_e64 s0, s29, v4
	v_cndmask_b32_e64 v14, 0, -1, vcc_lo
	v_cmp_le_u32_e32 vcc_lo, s29, v11
	v_cndmask_b32_e64 v15, 0, -1, vcc_lo
	v_cmp_le_u32_e32 vcc_lo, s28, v3
	;; [unrolled: 2-line block ×3, first 2 shown]
	v_cndmask_b32_e64 v16, 0, -1, vcc_lo
	v_cmp_eq_u32_e32 vcc_lo, s29, v11
	v_cndmask_b32_e64 v3, v16, v3, s0
	v_cndmask_b32_e32 v11, v15, v14, vcc_lo
	v_add_co_u32 v14, vcc_lo, v6, 1
	v_add_co_ci_u32_e32 v15, vcc_lo, 0, v10, vcc_lo
	v_cmp_ne_u32_e32 vcc_lo, 0, v11
	v_cndmask_b32_e32 v4, v15, v13, vcc_lo
	v_cndmask_b32_e32 v11, v14, v12, vcc_lo
	v_cmp_ne_u32_e32 vcc_lo, 0, v3
	v_cndmask_b32_e32 v4, v10, v4, vcc_lo
	v_cndmask_b32_e32 v3, v6, v11, vcc_lo
.LBB0_4:                                ;   in Loop: Header=BB0_2 Depth=1
	s_andn2_saveexec_b32 s0, s1
	s_cbranch_execz .LBB0_6
; %bb.5:                                ;   in Loop: Header=BB0_2 Depth=1
	v_cvt_f32_u32_e32 v3, s28
	s_sub_i32 s1, 0, s28
	v_rcp_iflag_f32_e32 v3, v3
	v_mul_f32_e32 v3, 0x4f7ffffe, v3
	v_cvt_u32_f32_e32 v3, v3
	v_mul_lo_u32 v4, s1, v3
	v_mul_hi_u32 v4, v3, v4
	v_add_nc_u32_e32 v3, v3, v4
	v_mul_hi_u32 v3, v7, v3
	v_mul_lo_u32 v4, v3, s28
	v_add_nc_u32_e32 v6, 1, v3
	v_sub_nc_u32_e32 v4, v7, v4
	v_subrev_nc_u32_e32 v10, s28, v4
	v_cmp_le_u32_e32 vcc_lo, s28, v4
	v_cndmask_b32_e32 v4, v4, v10, vcc_lo
	v_cndmask_b32_e32 v3, v3, v6, vcc_lo
	v_cmp_le_u32_e32 vcc_lo, s28, v4
	v_add_nc_u32_e32 v6, 1, v3
	v_mov_b32_e32 v4, v5
	v_cndmask_b32_e32 v3, v3, v6, vcc_lo
.LBB0_6:                                ;   in Loop: Header=BB0_2 Depth=1
	s_or_b32 exec_lo, exec_lo, s0
	v_mul_lo_u32 v6, v4, s28
	v_mul_lo_u32 v12, v3, s29
	s_load_dwordx2 s[0:1], s[22:23], 0x0
	v_mad_u64_u32 v[10:11], null, v3, s28, 0
	s_load_dwordx2 s[28:29], s[6:7], 0x0
	s_add_u32 s26, s26, 1
	s_addc_u32 s27, s27, 0
	s_add_u32 s6, s6, 8
	s_addc_u32 s7, s7, 0
	s_add_u32 s22, s22, 8
	v_add3_u32 v6, v11, v12, v6
	v_sub_co_u32 v7, vcc_lo, v7, v10
	s_addc_u32 s23, s23, 0
	s_add_u32 s24, s24, 8
	v_sub_co_ci_u32_e32 v6, vcc_lo, v8, v6, vcc_lo
	s_addc_u32 s25, s25, 0
	s_waitcnt lgkmcnt(0)
	v_mul_lo_u32 v8, s0, v6
	v_mul_lo_u32 v10, s1, v7
	v_mad_u64_u32 v[20:21], null, s0, v7, v[20:21]
	v_mul_lo_u32 v6, s28, v6
	v_mul_lo_u32 v11, s29, v7
	v_mad_u64_u32 v[1:2], null, s28, v7, v[1:2]
	v_cmp_ge_u64_e64 s0, s[26:27], s[10:11]
	v_add3_u32 v21, v10, v21, v8
	v_add3_u32 v2, v11, v2, v6
	s_and_b32 vcc_lo, exec_lo, s0
	s_cbranch_vccnz .LBB0_8
; %bb.7:                                ;   in Loop: Header=BB0_2 Depth=1
	v_mov_b32_e32 v8, v4
	v_mov_b32_e32 v7, v3
	s_branch .LBB0_2
.LBB0_8:
	s_load_dwordx2 s[0:1], s[4:5], 0x28
	v_mul_hi_u32 v5, 0xa3d70a4, v0
	s_lshl_b64 s[6:7], s[10:11], 3
                                        ; implicit-def: $vgpr37
                                        ; implicit-def: $vgpr38
                                        ; implicit-def: $vgpr41
                                        ; implicit-def: $vgpr39
                                        ; implicit-def: $vgpr40
	s_add_u32 s4, s18, s6
	s_addc_u32 s5, s19, s7
	s_waitcnt lgkmcnt(0)
	v_cmp_gt_u64_e32 vcc_lo, s[0:1], v[3:4]
	v_cmp_le_u64_e64 s0, s[0:1], v[3:4]
	s_and_saveexec_b32 s1, s0
	s_xor_b32 s0, exec_lo, s1
; %bb.9:
	v_mul_u32_u24_e32 v5, 25, v5
                                        ; implicit-def: $vgpr20_vgpr21
	v_sub_nc_u32_e32 v37, v0, v5
                                        ; implicit-def: $vgpr5
                                        ; implicit-def: $vgpr0
	v_add_nc_u32_e32 v38, 25, v37
	v_add_nc_u32_e32 v41, 50, v37
	;; [unrolled: 1-line block ×4, first 2 shown]
; %bb.10:
	s_or_saveexec_b32 s1, s0
                                        ; implicit-def: $vgpr13
                                        ; implicit-def: $vgpr15
                                        ; implicit-def: $vgpr17
                                        ; implicit-def: $vgpr19
                                        ; implicit-def: $vgpr11
                                        ; implicit-def: $vgpr32
                                        ; implicit-def: $vgpr34
                                        ; implicit-def: $vgpr22
                                        ; implicit-def: $vgpr24
                                        ; implicit-def: $vgpr8
                                        ; implicit-def: $vgpr36
                                        ; implicit-def: $vgpr26
                                        ; implicit-def: $vgpr30
                                        ; implicit-def: $vgpr28
                                        ; implicit-def: $vgpr6
	s_xor_b32 exec_lo, exec_lo, s1
	s_cbranch_execz .LBB0_12
; %bb.11:
	s_add_u32 s6, s16, s6
	s_addc_u32 s7, s17, s7
	v_mul_u32_u24_e32 v5, 25, v5
	s_load_dwordx2 s[6:7], s[6:7], 0x0
	v_sub_nc_u32_e32 v37, v0, v5
	v_lshlrev_b64 v[5:6], 3, v[20:21]
	v_mad_u64_u32 v[7:8], null, s20, v37, 0
	v_add_nc_u32_e32 v39, 0x4b, v37
	v_add_nc_u32_e32 v23, 0x96, v37
	;; [unrolled: 1-line block ×5, first 2 shown]
	v_mad_u64_u32 v[10:11], null, s20, v39, 0
	v_mov_b32_e32 v0, v8
	v_mad_u64_u32 v[12:13], null, s20, v23, 0
	s_waitcnt lgkmcnt(0)
	v_mul_lo_u32 v8, s7, v3
	v_mul_lo_u32 v21, s6, v4
	v_mad_u64_u32 v[14:15], null, s6, v3, 0
	v_mad_u64_u32 v[16:17], null, s20, v24, 0
	;; [unrolled: 1-line block ×3, first 2 shown]
	v_mov_b32_e32 v0, v11
	v_mov_b32_e32 v11, v13
	v_add3_u32 v15, v15, v21, v8
	v_mad_u64_u32 v[19:20], null, s20, v25, 0
	v_mad_u64_u32 v[21:22], null, s21, v39, v[0:1]
	v_lshlrev_b64 v[14:15], 3, v[14:15]
	v_mov_b32_e32 v13, v17
	v_mov_b32_e32 v8, v18
	v_mad_u64_u32 v[17:18], null, s21, v23, v[11:12]
	v_add_nc_u32_e32 v40, 0x64, v37
	v_add_co_u32 v0, s0, s12, v14
	v_mad_u64_u32 v[22:23], null, s21, v24, v[13:14]
	v_add_co_ci_u32_e64 v13, s0, s13, v15, s0
	v_mov_b32_e32 v11, v21
	v_lshlrev_b64 v[7:8], 3, v[7:8]
	v_add_co_u32 v46, s0, v0, v5
	v_add_co_ci_u32_e64 v47, s0, v13, v6, s0
	v_lshlrev_b64 v[5:6], 3, v[10:11]
	v_mov_b32_e32 v0, v20
	v_add_co_u32 v7, s0, v46, v7
	v_mov_b32_e32 v13, v17
	v_mov_b32_e32 v17, v22
	v_add_co_ci_u32_e64 v8, s0, v47, v8, s0
	v_add_co_u32 v10, s0, v46, v5
	v_mad_u64_u32 v[14:15], null, s21, v25, v[0:1]
	v_add_co_ci_u32_e64 v11, s0, v47, v6, s0
	v_lshlrev_b64 v[5:6], 3, v[12:13]
	v_lshlrev_b64 v[12:13], 3, v[16:17]
	v_mad_u64_u32 v[15:16], null, s20, v38, 0
	v_mad_u64_u32 v[21:22], null, s20, v40, 0
	v_add_co_u32 v17, s0, v46, v5
	v_add_co_ci_u32_e64 v18, s0, v47, v6, s0
	v_mov_b32_e32 v0, v16
	v_add_co_u32 v12, s0, v46, v12
	v_add_co_ci_u32_e64 v13, s0, v47, v13, s0
	v_mad_u64_u32 v[23:24], null, s21, v38, v[0:1]
	v_add_nc_u32_e32 v24, 0xaf, v37
	v_mov_b32_e32 v20, v14
	s_clause 0x3
	global_load_dwordx2 v[5:6], v[7:8], off
	global_load_dwordx2 v[27:28], v[10:11], off
	global_load_dwordx2 v[29:30], v[17:18], off
	global_load_dwordx2 v[25:26], v[12:13], off
	v_mov_b32_e32 v0, v22
	v_add_nc_u32_e32 v41, 50, v37
	v_mad_u64_u32 v[10:11], null, s20, v24, 0
	v_mov_b32_e32 v16, v23
	v_lshlrev_b64 v[7:8], 3, v[19:20]
	v_mad_u64_u32 v[12:13], null, s21, v40, v[0:1]
	v_add_nc_u32_e32 v23, 0xfa, v37
	v_lshlrev_b64 v[13:14], 3, v[15:16]
	v_mov_b32_e32 v0, v11
	v_add_co_u32 v7, s0, v46, v7
	v_add_co_ci_u32_e64 v8, s0, v47, v8, s0
	v_mov_b32_e32 v22, v12
	v_mad_u64_u32 v[11:12], null, s21, v24, v[0:1]
	v_mad_u64_u32 v[15:16], null, s20, v23, 0
	v_add_co_u32 v12, s0, v46, v13
	v_add_co_ci_u32_e64 v13, s0, v47, v14, s0
	v_add_nc_u32_e32 v14, 0x145, v37
	v_lshlrev_b64 v[17:18], 3, v[21:22]
	v_mov_b32_e32 v0, v16
	v_lshlrev_b64 v[10:11], 3, v[10:11]
	v_mad_u64_u32 v[31:32], null, s20, v41, 0
	v_mad_u64_u32 v[19:20], null, s20, v14, 0
	;; [unrolled: 1-line block ×3, first 2 shown]
	v_add_co_u32 v17, s0, v46, v17
	v_add_co_ci_u32_e64 v18, s0, v47, v18, s0
	v_mov_b32_e32 v0, v20
	v_add_nc_u32_e32 v33, 0x7d, v37
	v_add_co_u32 v10, s0, v46, v10
	v_add_co_ci_u32_e64 v11, s0, v47, v11, s0
	v_mov_b32_e32 v16, v21
	v_mad_u64_u32 v[20:21], null, s21, v14, v[0:1]
	s_clause 0x3
	global_load_dwordx2 v[35:36], v[7:8], off
	global_load_dwordx2 v[7:8], v[12:13], off
	;; [unrolled: 1-line block ×4, first 2 shown]
	v_mov_b32_e32 v0, v32
	v_mad_u64_u32 v[12:13], null, s20, v33, 0
	v_add_nc_u32_e32 v34, 0xc8, v37
	v_lshlrev_b64 v[10:11], 3, v[15:16]
	v_mad_u64_u32 v[14:15], null, s21, v41, v[0:1]
	v_add_nc_u32_e32 v44, 0x113, v37
	v_mad_u64_u32 v[15:16], null, s20, v34, 0
	v_mov_b32_e32 v0, v13
	v_lshlrev_b64 v[17:18], 3, v[19:20]
	v_mad_u64_u32 v[19:20], null, s20, v44, 0
	v_mov_b32_e32 v32, v14
	v_mad_u64_u32 v[13:14], null, s21, v33, v[0:1]
	v_mov_b32_e32 v0, v16
	v_add_nc_u32_e32 v14, 0x15e, v37
	v_add_co_u32 v10, s0, v46, v10
	v_lshlrev_b64 v[31:32], 3, v[31:32]
	v_mad_u64_u32 v[33:34], null, s21, v34, v[0:1]
	v_mad_u64_u32 v[42:43], null, s20, v14, 0
	v_mov_b32_e32 v0, v20
	v_add_co_ci_u32_e64 v11, s0, v47, v11, s0
	v_add_co_u32 v17, s0, v46, v17
	v_mov_b32_e32 v16, v33
	v_mad_u64_u32 v[33:34], null, s21, v44, v[0:1]
	v_mov_b32_e32 v0, v43
	v_add_co_ci_u32_e64 v18, s0, v47, v18, s0
	v_add_co_u32 v44, s0, v46, v31
	v_add_co_ci_u32_e64 v45, s0, v47, v32, s0
	v_mad_u64_u32 v[31:32], null, s21, v14, v[0:1]
	v_lshlrev_b64 v[12:13], 3, v[12:13]
	v_mov_b32_e32 v20, v33
	v_lshlrev_b64 v[14:15], 3, v[15:16]
	v_mov_b32_e32 v43, v31
	v_add_co_u32 v12, s0, v46, v12
	v_lshlrev_b64 v[19:20], 3, v[19:20]
	v_add_co_ci_u32_e64 v13, s0, v47, v13, s0
	v_add_co_u32 v14, s0, v46, v14
	v_lshlrev_b64 v[31:32], 3, v[42:43]
	v_add_co_ci_u32_e64 v15, s0, v47, v15, s0
	v_add_co_u32 v42, s0, v46, v19
	v_add_co_ci_u32_e64 v43, s0, v47, v20, s0
	v_add_co_u32 v46, s0, v46, v31
	v_add_co_ci_u32_e64 v47, s0, v47, v32, s0
	s_clause 0x6
	global_load_dwordx2 v[33:34], v[10:11], off
	global_load_dwordx2 v[31:32], v[17:18], off
	;; [unrolled: 1-line block ×7, first 2 shown]
.LBB0_12:
	s_or_b32 exec_lo, exec_lo, s1
	v_mul_hi_u32 v0, 0xcccccccd, v9
	s_waitcnt vmcnt(13)
	v_add_f32_e32 v42, v27, v5
	v_add_f32_e32 v48, v28, v6
	s_waitcnt vmcnt(11)
	v_add_f32_e32 v20, v25, v29
	s_waitcnt vmcnt(10)
	v_sub_f32_e32 v46, v35, v25
	v_sub_f32_e32 v50, v25, v35
	v_add_f32_e32 v42, v29, v42
	v_add_f32_e32 v48, v30, v48
	v_lshrrev_b32_e32 v0, 2, v0
	v_sub_f32_e32 v52, v29, v25
	v_sub_f32_e32 v43, v28, v36
	v_add_f32_e32 v42, v25, v42
	s_waitcnt vmcnt(8)
	v_add_f32_e32 v25, v24, v8
	v_lshl_add_u32 v0, v0, 2, v0
	v_sub_f32_e32 v44, v30, v26
	v_sub_f32_e32 v45, v27, v29
	v_add_f32_e32 v47, v35, v27
	v_sub_f32_e32 v49, v29, v27
	v_sub_nc_u32_e32 v0, v9, v0
	v_add_f32_e32 v9, v26, v48
	v_add_f32_e32 v51, v26, v30
	;; [unrolled: 1-line block ×3, first 2 shown]
	v_sub_f32_e32 v35, v27, v35
	v_add_f32_e32 v48, v36, v28
	v_sub_f32_e32 v27, v28, v30
	v_add_f32_e32 v54, v36, v9
	;; [unrolled: 2-line block ×3, first 2 shown]
	s_waitcnt vmcnt(7)
	v_sub_f32_e32 v30, v23, v21
	s_waitcnt vmcnt(5)
	v_add_f32_e32 v55, v31, v23
	v_sub_f32_e32 v56, v21, v23
	v_sub_f32_e32 v57, v23, v31
	v_add_f32_e32 v23, v22, v25
	v_add_f32_e32 v9, v21, v9
	;; [unrolled: 1-line block ×3, first 2 shown]
	v_sub_f32_e32 v64, v21, v33
	v_sub_f32_e32 v53, v36, v26
	v_add_f32_e32 v21, v34, v23
	v_sub_f32_e32 v36, v26, v36
	v_sub_f32_e32 v26, v24, v32
	v_add_f32_e32 v58, v32, v24
	v_sub_f32_e32 v59, v24, v22
	v_add_f32_e32 v29, v32, v21
	s_waitcnt vmcnt(3)
	v_add_f32_e32 v21, v18, v10
	v_sub_f32_e32 v60, v22, v24
	v_sub_f32_e32 v62, v22, v34
	v_add_f32_e32 v63, v34, v22
	v_add_f32_e32 v9, v33, v9
	v_sub_f32_e32 v22, v31, v33
	v_sub_f32_e32 v23, v33, v31
	;; [unrolled: 1-line block ×4, first 2 shown]
	s_waitcnt vmcnt(2)
	v_sub_f32_e32 v32, v18, v16
	s_waitcnt vmcnt(0)
	v_add_f32_e32 v65, v12, v18
	v_sub_f32_e32 v66, v16, v18
	v_add_f32_e32 v24, v19, v11
	v_sub_f32_e32 v68, v18, v12
	v_add_f32_e32 v18, v16, v21
	v_add_f32_e32 v9, v31, v9
	v_sub_f32_e32 v31, v19, v13
	v_add_f32_e32 v69, v13, v19
	v_sub_f32_e32 v70, v19, v17
	v_sub_f32_e32 v71, v17, v19
	v_add_f32_e32 v19, v17, v24
	v_add_f32_e32 v21, v14, v16
	v_sub_f32_e32 v73, v16, v14
	v_add_f32_e32 v16, v14, v18
	v_fma_f32 v18, -0.5, v20, v5
	v_sub_f32_e32 v67, v17, v15
	v_add_f32_e32 v72, v15, v17
	v_add_f32_e32 v17, v15, v19
	v_mul_u32_u24_e32 v0, 0x177, v0
	v_fmamk_f32 v20, v43, 0x3f737871, v18
	v_fmac_f32_e32 v5, -0.5, v47
	v_fmac_f32_e32 v18, 0xbf737871, v43
	v_sub_f32_e32 v19, v12, v14
	v_sub_f32_e32 v14, v14, v12
	;; [unrolled: 1-line block ×4, first 2 shown]
	v_lshlrev_b32_e32 v25, 2, v0
	v_add_f32_e32 v0, v12, v16
	v_add_f32_e32 v12, v46, v45
	v_fmac_f32_e32 v20, 0x3f167918, v44
	v_add_f32_e32 v45, v13, v17
	v_fmamk_f32 v13, v44, 0xbf737871, v5
	v_fmac_f32_e32 v5, 0x3f737871, v44
	v_fmac_f32_e32 v18, 0xbf167918, v44
	v_fma_f32 v16, -0.5, v61, v7
	v_add_nc_u32_e32 v24, 0, v25
	v_fmac_f32_e32 v20, 0x3e9e377a, v12
	v_add_f32_e32 v15, v50, v49
	v_fmac_f32_e32 v13, 0x3f167918, v43
	v_fmac_f32_e32 v5, 0xbf167918, v43
	;; [unrolled: 1-line block ×3, first 2 shown]
	v_fmac_f32_e32 v7, -0.5, v55
	v_fmamk_f32 v12, v26, 0x3f737871, v16
	v_fmac_f32_e32 v16, 0xbf737871, v26
	v_mad_u32_u24 v46, v37, 20, v24
	v_fmac_f32_e32 v13, 0x3e9e377a, v15
	v_fmac_f32_e32 v5, 0x3e9e377a, v15
	v_add_f32_e32 v15, v22, v30
	v_fmamk_f32 v17, v62, 0xbf737871, v7
	v_fmac_f32_e32 v7, 0x3f737871, v62
	v_fmac_f32_e32 v12, 0x3f167918, v62
	;; [unrolled: 1-line block ×3, first 2 shown]
	ds_write2_b32 v46, v42, v20 offset1:1
	v_add_f32_e32 v20, v23, v56
	v_fmac_f32_e32 v17, 0x3f167918, v26
	v_fmac_f32_e32 v7, 0xbf167918, v26
	;; [unrolled: 1-line block ×4, first 2 shown]
	v_fma_f32 v15, -0.5, v21, v10
	v_fmac_f32_e32 v10, -0.5, v65
	v_fma_f32 v43, -0.5, v51, v6
	v_fmac_f32_e32 v17, 0x3e9e377a, v20
	v_fmac_f32_e32 v7, 0x3e9e377a, v20
	v_fmamk_f32 v20, v31, 0x3f737871, v15
	v_fmamk_f32 v21, v67, 0xbf737871, v10
	v_fmac_f32_e32 v10, 0x3f737871, v67
	v_fmac_f32_e32 v15, 0xbf737871, v31
	v_add_f32_e32 v19, v19, v32
	v_fmamk_f32 v32, v35, 0xbf737871, v43
	v_fmac_f32_e32 v20, 0x3f167918, v67
	v_add_f32_e32 v14, v14, v66
	v_fmac_f32_e32 v21, 0x3f167918, v31
	v_fmac_f32_e32 v10, 0xbf167918, v31
	v_mad_i32_i24 v44, v38, 20, v24
	v_fmac_f32_e32 v15, 0xbf167918, v67
	v_add_f32_e32 v42, v53, v27
	v_fmac_f32_e32 v32, 0xbf167918, v52
	s_load_dwordx2 s[4:5], s[4:5], 0x0
	ds_write2_b32 v46, v13, v5 offset0:2 offset1:3
	ds_write_b32 v46, v18 offset:16
	v_lshlrev_b32_e32 v5, 2, v37
	v_fmac_f32_e32 v20, 0x3e9e377a, v19
	v_mad_i32_i24 v47, v41, 20, v24
	v_fmac_f32_e32 v21, 0x3e9e377a, v14
	v_fmac_f32_e32 v10, 0x3e9e377a, v14
	ds_write2_b32 v44, v9, v12 offset1:1
	ds_write2_b32 v44, v17, v7 offset0:2 offset1:3
	v_lshlrev_b32_e32 v7, 4, v38
	v_fmac_f32_e32 v15, 0x3e9e377a, v19
	v_lshlrev_b32_e32 v9, 4, v41
	v_fmac_f32_e32 v32, 0x3e9e377a, v42
	ds_write_b32 v44, v16 offset:16
	ds_write2_b32 v47, v0, v20 offset1:1
	ds_write2_b32 v47, v21, v10 offset0:2 offset1:3
	ds_write_b32 v47, v15 offset:16
	v_add3_u32 v0, 0, v5, v25
	v_add_nc_u32_e32 v18, v24, v5
	v_fmac_f32_e32 v6, -0.5, v48
	v_lshl_add_u32 v21, v39, 2, v24
	v_sub_nc_u32_e32 v19, v44, v7
	v_lshl_add_u32 v22, v40, 2, v24
	v_sub_nc_u32_e32 v20, v47, v9
	s_waitcnt lgkmcnt(0)
	s_barrier
	buffer_gl0_inv
	v_add_nc_u32_e32 v23, 0x400, v0
	ds_read_b32 v27, v18
	ds_read_b32 v31, v21
	;; [unrolled: 1-line block ×5, first 2 shown]
	ds_read2_b32 v[12:13], v0 offset0:125 offset1:150
	ds_read2_b32 v[66:67], v0 offset0:225 offset1:250
	;; [unrolled: 1-line block ×5, first 2 shown]
	s_waitcnt lgkmcnt(0)
	s_barrier
	buffer_gl0_inv
	ds_write2_b32 v46, v54, v32 offset1:1
	v_fmamk_f32 v32, v52, 0x3f737871, v6
	v_fmac_f32_e32 v6, 0xbf737871, v52
	v_add_f32_e32 v28, v36, v28
	v_fma_f32 v36, -0.5, v63, v8
	v_fmac_f32_e32 v43, 0x3f737871, v35
	v_fmac_f32_e32 v32, 0xbf167918, v35
	;; [unrolled: 1-line block ×3, first 2 shown]
	v_fmac_f32_e32 v8, -0.5, v58
	v_fmamk_f32 v35, v57, 0xbf737871, v36
	v_fmac_f32_e32 v36, 0x3f737871, v57
	v_fmac_f32_e32 v43, 0x3f167918, v52
	v_add_f32_e32 v33, v33, v59
	v_add_f32_e32 v34, v34, v60
	v_fmac_f32_e32 v35, 0xbf167918, v64
	v_fmac_f32_e32 v36, 0x3f167918, v64
	;; [unrolled: 1-line block ×3, first 2 shown]
	v_fmamk_f32 v42, v64, 0x3f737871, v8
	v_fmac_f32_e32 v8, 0xbf737871, v64
	v_fmac_f32_e32 v35, 0x3e9e377a, v33
	;; [unrolled: 1-line block ×3, first 2 shown]
	v_fma_f32 v33, -0.5, v72, v11
	v_fmac_f32_e32 v42, 0xbf167918, v57
	v_fmac_f32_e32 v8, 0x3f167918, v57
	;; [unrolled: 1-line block ×4, first 2 shown]
	v_fmamk_f32 v48, v68, 0xbf737871, v33
	v_fmac_f32_e32 v33, 0x3f737871, v68
	v_fmac_f32_e32 v42, 0x3e9e377a, v34
	;; [unrolled: 1-line block ×3, first 2 shown]
	v_add_f32_e32 v34, v74, v70
	v_and_b32_e32 v28, 0xff, v37
	v_fmac_f32_e32 v48, 0xbf167918, v73
	v_fmac_f32_e32 v33, 0x3f167918, v73
	v_fmac_f32_e32 v11, -0.5, v69
	ds_write2_b32 v46, v32, v6 offset0:2 offset1:3
	v_mul_lo_u16 v28, 0xcd, v28
	v_fmac_f32_e32 v48, 0x3e9e377a, v34
	v_fmac_f32_e32 v33, 0x3e9e377a, v34
	v_and_b32_e32 v34, 0xff, v38
	v_fmamk_f32 v49, v73, 0x3f737871, v11
	v_fmac_f32_e32 v11, 0xbf737871, v73
	v_lshrrev_b16 v28, 10, v28
	v_add_f32_e32 v50, v75, v71
	v_mul_lo_u16 v6, 0xcd, v34
	v_fmac_f32_e32 v49, 0xbf167918, v68
	v_fmac_f32_e32 v11, 0x3f167918, v68
	v_mul_lo_u16 v51, v28, 5
	ds_write_b32 v46, v43 offset:16
	ds_write2_b32 v44, v29, v35 offset1:1
	v_lshrrev_b16 v29, 10, v6
	v_fmac_f32_e32 v49, 0x3e9e377a, v50
	v_fmac_f32_e32 v11, 0x3e9e377a, v50
	v_sub_nc_u16 v32, v37, v51
	v_mov_b32_e32 v34, 5
	ds_write2_b32 v44, v42, v8 offset0:2 offset1:3
	v_and_b32_e32 v6, 0xff, v41
	v_mul_lo_u16 v8, v29, 5
	ds_write_b32 v44, v36 offset:16
	ds_write2_b32 v47, v45, v48 offset1:1
	ds_write2_b32 v47, v49, v11 offset0:2 offset1:3
	v_lshlrev_b32_sdwa v35, v34, v32 dst_sel:DWORD dst_unused:UNUSED_PAD src0_sel:DWORD src1_sel:BYTE_0
	v_mul_lo_u16 v11, 0xcd, v6
	v_sub_nc_u16 v36, v38, v8
	ds_write_b32 v47, v33 offset:16
	s_waitcnt lgkmcnt(0)
	s_barrier
	v_lshrrev_b16 v8, 10, v11
	buffer_gl0_inv
	v_lshlrev_b32_sdwa v11, v34, v36 dst_sel:DWORD dst_unused:UNUSED_PAD src0_sel:DWORD src1_sel:BYTE_0
	global_load_dwordx4 v[42:45], v35, s[8:9] offset:16
	v_mul_lo_u16 v6, v6, 41
	v_mul_lo_u16 v33, v8, 5
	v_and_b32_e32 v8, 0xffff, v8
	global_load_dwordx4 v[46:49], v11, s[8:9] offset:16
	v_lshrrev_b16 v6, 10, v6
	v_sub_nc_u16 v72, v41, v33
	v_mad_u32_u24 v8, 0x64, v8, 0
	v_mul_lo_u16 v6, v6, 25
	v_lshlrev_b32_sdwa v33, v34, v72 dst_sel:DWORD dst_unused:UNUSED_PAD src0_sel:DWORD src1_sel:BYTE_0
	s_clause 0x3
	global_load_dwordx4 v[50:53], v33, s[8:9] offset:16
	global_load_dwordx4 v[54:57], v35, s[8:9]
	global_load_dwordx4 v[58:61], v33, s[8:9]
	;; [unrolled: 1-line block ×3, first 2 shown]
	ds_read2_b32 v[34:35], v0 offset0:225 offset1:250
	ds_read2_b32 v[68:69], v23 offset0:19 offset1:44
	;; [unrolled: 1-line block ×3, first 2 shown]
	v_mov_b32_e32 v11, 2
	v_lshlrev_b32_sdwa v33, v11, v32 dst_sel:DWORD dst_unused:UNUSED_PAD src0_sel:DWORD src1_sel:BYTE_0
	v_lshlrev_b32_sdwa v32, v11, v36 dst_sel:DWORD dst_unused:UNUSED_PAD src0_sel:DWORD src1_sel:BYTE_0
	;; [unrolled: 1-line block ×3, first 2 shown]
	ds_read_b32 v36, v21
	ds_read2_b32 v[72:73], v0 offset0:125 offset1:150
	v_add3_u32 v11, v8, v11, v25
	s_waitcnt vmcnt(5) lgkmcnt(4)
	v_mul_f32_e32 v74, v34, v43
	v_mul_f32_e32 v75, v66, v43
	s_waitcnt lgkmcnt(3)
	v_mul_f32_e32 v43, v69, v45
	v_mul_f32_e32 v45, v17, v45
	s_waitcnt vmcnt(4)
	v_mul_f32_e32 v76, v35, v47
	v_fma_f32 v66, v66, v42, -v74
	v_fmac_f32_e32 v75, v34, v42
	v_fma_f32 v74, v17, v44, -v43
	v_fmac_f32_e32 v45, v69, v44
	s_waitcnt lgkmcnt(2)
	v_mul_f32_e32 v44, v70, v49
	v_mul_f32_e32 v17, v14, v49
	ds_read2_b32 v[42:43], v0 offset0:175 offset1:200
	v_mul_f32_e32 v34, v67, v47
	v_fma_f32 v47, v67, v46, -v76
	ds_read_b32 v67, v20
	v_fma_f32 v14, v14, v48, -v44
	v_fmac_f32_e32 v17, v70, v48
	ds_read_b32 v44, v22
	ds_read_b32 v69, v19
	;; [unrolled: 1-line block ×3, first 2 shown]
	v_fmac_f32_e32 v34, v35, v46
	s_waitcnt vmcnt(3)
	v_mul_f32_e32 v35, v68, v51
	v_mul_f32_e32 v46, v16, v51
	;; [unrolled: 1-line block ×3, first 2 shown]
	s_waitcnt vmcnt(2) lgkmcnt(6)
	v_mul_f32_e32 v49, v36, v55
	s_waitcnt lgkmcnt(5)
	v_mul_f32_e32 v51, v73, v57
	v_fma_f32 v16, v16, v50, -v35
	v_mul_f32_e32 v35, v15, v53
	v_fmac_f32_e32 v46, v68, v50
	v_mul_f32_e32 v50, v31, v55
	v_fma_f32 v15, v15, v52, -v48
	v_mul_f32_e32 v48, v13, v57
	s_waitcnt vmcnt(1)
	v_mul_f32_e32 v53, v72, v59
	v_fmac_f32_e32 v35, v71, v52
	v_mul_f32_e32 v52, v12, v59
	s_waitcnt lgkmcnt(4)
	v_mul_f32_e32 v55, v43, v61
	v_mul_f32_e32 v57, v10, v61
	s_waitcnt vmcnt(0)
	v_mul_f32_e32 v59, v42, v65
	v_mul_f32_e32 v61, v9, v65
	s_waitcnt lgkmcnt(2)
	v_mul_f32_e32 v65, v44, v63
	v_fma_f32 v31, v31, v54, -v49
	v_mul_f32_e32 v49, v30, v63
	v_fma_f32 v13, v13, v56, -v51
	v_fmac_f32_e32 v50, v36, v54
	v_fma_f32 v30, v30, v62, -v65
	v_fmac_f32_e32 v48, v73, v56
	;; [unrolled: 2-line block ×3, first 2 shown]
	v_fmac_f32_e32 v57, v43, v60
	v_fma_f32 v9, v9, v64, -v59
	v_add_f32_e32 v43, v13, v66
	v_sub_f32_e32 v53, v13, v31
	v_sub_f32_e32 v54, v66, v74
	v_add_f32_e32 v72, v26, v30
	v_fma_f32 v10, v10, v60, -v55
	v_fmac_f32_e32 v61, v42, v64
	v_fmac_f32_e32 v49, v44, v62
	v_add_f32_e32 v44, v31, v74
	v_sub_f32_e32 v55, v50, v48
	v_add_f32_e32 v59, v50, v45
	s_waitcnt lgkmcnt(0)
	v_add_f32_e32 v60, v70, v50
	v_sub_f32_e32 v62, v48, v50
	v_sub_f32_e32 v64, v30, v9
	v_add_f32_e32 v68, v9, v47
	v_sub_f32_e32 v73, v9, v30
	v_fma_f32 v43, -0.5, v43, v27
	v_add_f32_e32 v53, v53, v54
	v_sub_f32_e32 v54, v9, v47
	v_sub_f32_e32 v50, v50, v45
	v_add_f32_e32 v9, v72, v9
	v_sub_f32_e32 v36, v31, v13
	v_sub_f32_e32 v42, v74, v66
	v_add_f32_e32 v51, v27, v31
	v_add_f32_e32 v58, v48, v75
	v_sub_f32_e32 v65, v14, v47
	v_add_f32_e32 v71, v30, v14
	v_sub_f32_e32 v76, v47, v14
	v_fmac_f32_e32 v27, -0.5, v44
	v_sub_f32_e32 v44, v48, v75
	v_add_f32_e32 v9, v9, v47
	v_fmamk_f32 v47, v50, 0x3f737871, v43
	v_fmac_f32_e32 v43, 0xbf737871, v50
	v_sub_f32_e32 v56, v45, v75
	v_sub_f32_e32 v63, v75, v45
	v_add_f32_e32 v36, v36, v42
	v_sub_f32_e32 v42, v13, v66
	v_fma_f32 v58, -0.5, v58, v70
	v_fmac_f32_e32 v70, -0.5, v59
	v_sub_f32_e32 v59, v61, v34
	v_add_f32_e32 v64, v64, v65
	v_fma_f32 v65, -0.5, v68, v26
	v_fmac_f32_e32 v26, -0.5, v71
	v_fmac_f32_e32 v47, 0x3f167918, v44
	v_fmac_f32_e32 v43, 0xbf167918, v44
	v_sub_f32_e32 v31, v31, v74
	v_sub_f32_e32 v30, v30, v14
	v_add_f32_e32 v55, v55, v56
	v_sub_f32_e32 v56, v49, v17
	v_add_f32_e32 v62, v62, v63
	v_add_f32_e32 v63, v61, v34
	;; [unrolled: 1-line block ×4, first 2 shown]
	v_fmamk_f32 v71, v42, 0x3f737871, v70
	v_fmac_f32_e32 v70, 0xbf737871, v42
	v_fmamk_f32 v73, v59, 0xbf737871, v26
	v_fmac_f32_e32 v26, 0x3f737871, v59
	v_add_f32_e32 v9, v9, v14
	v_fmac_f32_e32 v47, 0x3e9e377a, v36
	v_fmac_f32_e32 v43, 0x3e9e377a, v36
	v_add_f32_e32 v14, v49, v17
	v_add_f32_e32 v36, v69, v49
	v_fmamk_f32 v68, v31, 0xbf737871, v58
	v_fmac_f32_e32 v58, 0x3f737871, v31
	v_fmac_f32_e32 v71, 0xbf167918, v31
	;; [unrolled: 1-line block ×5, first 2 shown]
	v_fma_f32 v31, -0.5, v63, v69
	v_fmac_f32_e32 v69, -0.5, v14
	v_add_f32_e32 v36, v36, v61
	v_sub_f32_e32 v78, v17, v34
	v_add_f32_e32 v13, v13, v66
	v_fmamk_f32 v66, v44, 0xbf737871, v27
	v_fmac_f32_e32 v27, 0x3f737871, v44
	v_fmac_f32_e32 v68, 0xbf167918, v42
	;; [unrolled: 1-line block ×5, first 2 shown]
	v_sub_f32_e32 v42, v61, v49
	v_fmamk_f32 v51, v54, 0x3f737871, v69
	v_sub_f32_e32 v44, v34, v17
	v_fmac_f32_e32 v69, 0xbf737871, v54
	v_add_f32_e32 v34, v36, v34
	v_add_f32_e32 v36, v10, v16
	;; [unrolled: 1-line block ×3, first 2 shown]
	v_fmamk_f32 v14, v30, 0xbf737871, v31
	v_fmac_f32_e32 v31, 0x3f737871, v30
	v_add_f32_e32 v42, v42, v44
	v_fmac_f32_e32 v51, 0xbf167918, v30
	v_fmac_f32_e32 v69, 0x3f167918, v30
	v_fma_f32 v30, -0.5, v36, v7
	v_sub_f32_e32 v36, v12, v10
	v_sub_f32_e32 v44, v15, v16
	;; [unrolled: 1-line block ×3, first 2 shown]
	v_add_f32_e32 v48, v48, v75
	v_add_f32_e32 v17, v34, v17
	v_sub_f32_e32 v34, v52, v35
	v_add_f32_e32 v36, v36, v44
	v_add_f32_e32 v44, v12, v15
	;; [unrolled: 1-line block ×3, first 2 shown]
	v_fmac_f32_e32 v66, 0x3f167918, v50
	v_fmac_f32_e32 v27, 0xbf167918, v50
	v_add_f32_e32 v50, v48, v45
	v_fmamk_f32 v45, v34, 0x3f737871, v30
	v_sub_f32_e32 v48, v57, v46
	v_fmac_f32_e32 v51, 0x3e9e377a, v42
	v_fmac_f32_e32 v30, 0xbf737871, v34
	;; [unrolled: 1-line block ×3, first 2 shown]
	v_fmac_f32_e32 v7, -0.5, v44
	v_add_f32_e32 v42, v49, v10
	v_fmac_f32_e32 v66, 0x3e9e377a, v53
	v_fmac_f32_e32 v27, 0x3e9e377a, v53
	;; [unrolled: 1-line block ×4, first 2 shown]
	v_sub_f32_e32 v44, v10, v12
	v_sub_f32_e32 v49, v16, v15
	v_fmamk_f32 v53, v48, 0xbf737871, v7
	v_fmac_f32_e32 v7, 0x3f737871, v48
	v_add_f32_e32 v42, v42, v16
	v_fmac_f32_e32 v45, 0x3e9e377a, v36
	v_fmac_f32_e32 v30, 0x3e9e377a, v36
	v_add_f32_e32 v36, v44, v49
	v_fmac_f32_e32 v53, 0x3f167918, v34
	v_fmac_f32_e32 v7, 0xbf167918, v34
	v_add_f32_e32 v34, v42, v15
	v_sub_f32_e32 v12, v12, v15
	v_add_f32_e32 v15, v57, v46
	v_sub_f32_e32 v10, v10, v16
	v_fmac_f32_e32 v53, 0x3e9e377a, v36
	v_fmac_f32_e32 v7, 0x3e9e377a, v36
	v_add_f32_e32 v16, v52, v35
	v_fma_f32 v36, -0.5, v15, v67
	v_add_f32_e32 v15, v67, v52
	v_sub_f32_e32 v42, v52, v57
	v_sub_f32_e32 v44, v35, v46
	v_fmac_f32_e32 v67, -0.5, v16
	v_sub_f32_e32 v16, v57, v52
	v_add_f32_e32 v15, v15, v57
	v_fmac_f32_e32 v14, 0xbf167918, v54
	v_fmac_f32_e32 v31, 0x3f167918, v54
	v_fmamk_f32 v52, v10, 0x3f737871, v67
	v_fmac_f32_e32 v67, 0xbf737871, v10
	v_add_f32_e32 v15, v15, v46
	v_fmamk_f32 v54, v12, 0xbf737871, v36
	v_fmac_f32_e32 v36, 0x3f737871, v12
	v_fmac_f32_e32 v52, 0xbf167918, v12
	;; [unrolled: 1-line block ×3, first 2 shown]
	v_add_f32_e32 v12, v15, v35
	v_and_b32_e32 v15, 0xffff, v28
	v_add_f32_e32 v42, v42, v44
	v_sub_f32_e32 v44, v46, v35
	v_fmamk_f32 v72, v56, 0x3f737871, v65
	v_fmac_f32_e32 v54, 0xbf167918, v10
	v_mad_u32_u24 v15, 0x64, v15, 0
	v_fmac_f32_e32 v36, 0x3f167918, v10
	v_add_f32_e32 v10, v16, v44
	v_and_b32_e32 v16, 0xffff, v29
	v_fmac_f32_e32 v65, 0xbf737871, v56
	v_add_f32_e32 v13, v13, v74
	v_add3_u32 v28, v15, v33, v25
	v_add_f32_e32 v60, v77, v78
	v_fmac_f32_e32 v72, 0x3f167918, v59
	v_fmac_f32_e32 v52, 0x3e9e377a, v10
	v_fmac_f32_e32 v67, 0x3e9e377a, v10
	v_mad_u32_u24 v10, 0x64, v16, 0
	v_fmac_f32_e32 v65, 0xbf167918, v59
	v_fmac_f32_e32 v68, 0x3e9e377a, v55
	;; [unrolled: 1-line block ×4, first 2 shown]
	s_barrier
	buffer_gl0_inv
	ds_write2_b32 v28, v13, v47 offset1:5
	ds_write2_b32 v28, v66, v27 offset0:10 offset1:15
	v_sub_nc_u16 v13, v41, v6
	v_mov_b32_e32 v6, 0
	v_fmac_f32_e32 v71, 0x3e9e377a, v62
	v_fmac_f32_e32 v70, 0x3e9e377a, v62
	;; [unrolled: 1-line block ×4, first 2 shown]
	v_add3_u32 v10, v10, v32, v25
	v_fmac_f32_e32 v36, 0x3e9e377a, v42
	v_fmac_f32_e32 v65, 0x3e9e377a, v64
	;; [unrolled: 1-line block ×3, first 2 shown]
	ds_write_b32 v28, v43 offset:80
	ds_write2_b32 v10, v9, v72 offset1:5
	ds_write2_b32 v10, v73, v26 offset0:10 offset1:15
	ds_write_b32 v10, v65 offset:80
	ds_write2_b32 v11, v34, v45 offset1:5
	ds_write2_b32 v11, v53, v7 offset0:10 offset1:15
	ds_write_b32 v11, v30 offset:80
	s_waitcnt lgkmcnt(0)
	s_barrier
	buffer_gl0_inv
	ds_read2_b32 v[15:16], v0 offset0:125 offset1:150
	ds_read2_b32 v[42:43], v0 offset0:225 offset1:250
	;; [unrolled: 1-line block ×5, first 2 shown]
	ds_read_b32 v9, v18
	ds_read_b32 v60, v21
	;; [unrolled: 1-line block ×5, first 2 shown]
	s_waitcnt lgkmcnt(0)
	s_barrier
	buffer_gl0_inv
	ds_write2_b32 v28, v50, v68 offset1:5
	ds_write2_b32 v28, v71, v70 offset0:10 offset1:15
	ds_write_b32 v28, v58 offset:80
	ds_write2_b32 v10, v17, v14 offset1:5
	ds_write2_b32 v10, v51, v69 offset0:10 offset1:15
	ds_write_b32 v10, v31 offset:80
	;; [unrolled: 3-line block ×3, first 2 shown]
	v_lshlrev_b64 v[11:12], 3, v[5:6]
	v_and_b32_e32 v10, 0xff, v13
	s_waitcnt lgkmcnt(0)
	s_barrier
	buffer_gl0_inv
	v_add_co_u32 v29, s0, s8, v11
	v_lshlrev_b32_e32 v5, 5, v10
	v_add_co_ci_u32_e64 v30, s0, s9, v12, s0
	s_clause 0x3
	global_load_dwordx4 v[11:14], v5, s[8:9] offset:160
	global_load_dwordx4 v[25:28], v[29:30], off offset:160
	global_load_dwordx4 v[29:32], v[29:30], off offset:176
	global_load_dwordx4 v[33:36], v5, s[8:9] offset:176
	ds_read2_b32 v[50:51], v0 offset0:125 offset1:150
	ds_read2_b32 v[52:53], v0 offset0:175 offset1:200
	ds_read_b32 v5, v21
	ds_read_b32 v17, v22
	ds_read2_b32 v[54:55], v0 offset0:225 offset1:250
	ds_read2_b32 v[56:57], v23 offset0:19 offset1:44
	;; [unrolled: 1-line block ×3, first 2 shown]
	ds_read_b32 v62, v20
	ds_read_b32 v63, v19
	;; [unrolled: 1-line block ×3, first 2 shown]
	s_waitcnt vmcnt(0) lgkmcnt(0)
	s_barrier
	buffer_gl0_inv
	v_mul_f32_e32 v65, v50, v12
	v_mul_f32_e32 v12, v15, v12
	;; [unrolled: 1-line block ×14, first 2 shown]
	v_fma_f32 v15, v15, v11, -v65
	v_fmac_f32_e32 v12, v50, v11
	v_fma_f32 v11, v47, v13, -v66
	v_fmac_f32_e32 v14, v53, v13
	v_mul_f32_e32 v13, v42, v30
	v_mul_f32_e32 v47, v57, v32
	;; [unrolled: 1-line block ×6, first 2 shown]
	v_fma_f32 v16, v16, v27, -v67
	v_fmac_f32_e32 v68, v51, v27
	v_mul_f32_e32 v51, v56, v34
	v_mul_f32_e32 v34, v44, v34
	v_fma_f32 v46, v46, v27, -v69
	v_mul_f32_e32 v65, v59, v36
	v_mul_f32_e32 v36, v49, v36
	v_fmac_f32_e32 v28, v52, v27
	v_fma_f32 v27, v60, v25, -v70
	v_fmac_f32_e32 v71, v5, v25
	v_fma_f32 v5, v61, v25, -v72
	v_fmac_f32_e32 v26, v17, v25
	v_fma_f32 v17, v42, v29, -v73
	v_fma_f32 v25, v43, v29, -v74
	v_fmac_f32_e32 v13, v54, v29
	v_fmac_f32_e32 v30, v55, v29
	v_fma_f32 v29, v45, v31, -v47
	v_fma_f32 v42, v48, v31, -v53
	v_fmac_f32_e32 v32, v58, v31
	v_fmac_f32_e32 v50, v57, v31
	v_fma_f32 v31, v44, v33, -v51
	v_fmac_f32_e32 v34, v56, v33
	v_fma_f32 v33, v49, v35, -v65
	v_fmac_f32_e32 v36, v59, v35
	v_add_f32_e32 v35, v9, v27
	v_add_f32_e32 v43, v16, v17
	v_sub_f32_e32 v44, v27, v16
	v_sub_f32_e32 v45, v29, v17
	v_add_f32_e32 v47, v27, v29
	v_add_f32_e32 v65, v7, v5
	v_sub_f32_e32 v66, v46, v5
	v_sub_f32_e32 v67, v25, v42
	v_add_f32_e32 v72, v28, v30
	v_add_f32_e32 v73, v26, v32
	v_add_f32_e32 v74, v63, v26
	v_sub_f32_e32 v75, v28, v26
	v_sub_f32_e32 v76, v30, v32
	v_add_f32_e32 v51, v68, v13
	v_sub_f32_e32 v52, v71, v68
	v_sub_f32_e32 v53, v50, v13
	v_add_f32_e32 v54, v71, v50
	v_sub_f32_e32 v69, v26, v28
	v_sub_f32_e32 v70, v32, v30
	;; [unrolled: 1-line block ×4, first 2 shown]
	v_add_f32_e32 v60, v46, v25
	v_add_f32_e32 v61, v5, v42
	;; [unrolled: 1-line block ×3, first 2 shown]
	v_sub_f32_e32 v56, v68, v71
	v_sub_f32_e32 v58, v5, v46
	v_add_f32_e32 v44, v44, v45
	v_add_f32_e32 v45, v11, v31
	v_fma_f32 v43, -0.5, v43, v9
	v_fmac_f32_e32 v9, -0.5, v47
	v_add_f32_e32 v47, v15, v33
	v_add_f32_e32 v66, v66, v67
	v_sub_f32_e32 v67, v16, v17
	v_fma_f32 v72, -0.5, v72, v63
	v_fmac_f32_e32 v63, -0.5, v73
	v_sub_f32_e32 v73, v46, v25
	v_add_f32_e32 v75, v75, v76
	v_sub_f32_e32 v76, v28, v30
	v_sub_f32_e32 v71, v71, v50
	v_add_f32_e32 v16, v35, v16
	v_add_f32_e32 v46, v65, v46
	;; [unrolled: 1-line block ×4, first 2 shown]
	v_sub_f32_e32 v53, v11, v15
	v_fma_f32 v51, -0.5, v51, v64
	v_fmac_f32_e32 v64, -0.5, v54
	v_sub_f32_e32 v54, v31, v33
	v_add_f32_e32 v69, v69, v70
	v_sub_f32_e32 v70, v68, v13
	v_sub_f32_e32 v57, v13, v50
	;; [unrolled: 1-line block ×5, first 2 shown]
	v_add_f32_e32 v48, v48, v49
	v_add_f32_e32 v49, v8, v15
	v_fma_f32 v60, -0.5, v60, v7
	v_fmac_f32_e32 v7, -0.5, v61
	v_sub_f32_e32 v26, v26, v32
	v_fma_f32 v45, -0.5, v45, v8
	v_fmac_f32_e32 v8, -0.5, v47
	v_sub_f32_e32 v47, v12, v36
	v_add_f32_e32 v16, v16, v17
	v_add_f32_e32 v17, v46, v25
	;; [unrolled: 1-line block ×3, first 2 shown]
	v_fmamk_f32 v28, v71, 0x3f737871, v43
	v_fmac_f32_e32 v43, 0xbf737871, v71
	v_add_f32_e32 v53, v53, v54
	v_sub_f32_e32 v54, v14, v34
	v_fmamk_f32 v30, v70, 0xbf737871, v9
	v_fmac_f32_e32 v9, 0x3f737871, v70
	v_add_f32_e32 v56, v56, v57
	v_add_f32_e32 v57, v14, v34
	;; [unrolled: 1-line block ×6, first 2 shown]
	v_sub_f32_e32 v78, v11, v31
	v_add_f32_e32 v35, v55, v68
	v_add_f32_e32 v11, v49, v11
	v_fmamk_f32 v46, v26, 0x3f737871, v60
	v_fmamk_f32 v55, v76, 0xbf737871, v7
	v_fmac_f32_e32 v60, 0xbf737871, v26
	v_fmac_f32_e32 v7, 0x3f737871, v76
	v_fmamk_f32 v65, v47, 0x3f737871, v45
	v_fmac_f32_e32 v28, 0x3f167918, v70
	v_fmac_f32_e32 v43, 0xbf167918, v70
	;; [unrolled: 3-line block ×3, first 2 shown]
	v_fmac_f32_e32 v9, 0xbf167918, v71
	v_sub_f32_e32 v5, v5, v42
	v_fma_f32 v57, -0.5, v57, v62
	v_fmac_f32_e32 v62, -0.5, v59
	v_add_f32_e32 v49, v61, v14
	v_add_f32_e32 v13, v35, v13
	;; [unrolled: 1-line block ×3, first 2 shown]
	v_fmamk_f32 v61, v73, 0x3f737871, v63
	v_fmac_f32_e32 v63, 0xbf737871, v73
	v_fmac_f32_e32 v45, 0xbf737871, v47
	;; [unrolled: 1-line block ×6, first 2 shown]
	v_add_f32_e32 v16, v16, v29
	v_fmac_f32_e32 v65, 0x3f167918, v54
	v_fmac_f32_e32 v28, 0x3e9e377a, v44
	;; [unrolled: 1-line block ×3, first 2 shown]
	v_lshl_add_u32 v44, v10, 2, v24
	v_fmac_f32_e32 v68, 0x3f167918, v47
	v_fmac_f32_e32 v8, 0xbf167918, v47
	;; [unrolled: 1-line block ×4, first 2 shown]
	v_sub_f32_e32 v27, v27, v29
	v_sub_f32_e32 v15, v15, v33
	v_fmamk_f32 v35, v67, 0x3f737871, v64
	v_fmac_f32_e32 v64, 0xbf737871, v67
	v_fmamk_f32 v59, v5, 0xbf737871, v72
	v_fmac_f32_e32 v72, 0x3f737871, v5
	v_add_f32_e32 v29, v13, v50
	v_add_f32_e32 v13, v17, v42
	v_fmac_f32_e32 v61, 0xbf167918, v5
	v_fmac_f32_e32 v63, 0x3f167918, v5
	v_add_f32_e32 v5, v11, v33
	v_fmac_f32_e32 v45, 0xbf167918, v54
	v_sub_f32_e32 v11, v12, v14
	v_sub_f32_e32 v17, v36, v34
	;; [unrolled: 1-line block ×3, first 2 shown]
	v_fmamk_f32 v33, v78, 0x3f737871, v62
	v_sub_f32_e32 v14, v34, v36
	v_fmac_f32_e32 v62, 0xbf737871, v78
	v_fmac_f32_e32 v46, 0x3e9e377a, v58
	;; [unrolled: 1-line block ×6, first 2 shown]
	ds_write2_b32 v0, v16, v28 offset1:25
	ds_write2_b32 v0, v30, v9 offset0:50 offset1:75
	v_add_nc_u32_e32 v28, 0x200, v44
	v_fmac_f32_e32 v68, 0x3e9e377a, v53
	v_fmac_f32_e32 v8, 0x3e9e377a, v53
	v_add_nc_u32_e32 v30, 0x400, v44
	v_fmamk_f32 v31, v27, 0xbf737871, v51
	v_fmac_f32_e32 v51, 0x3f737871, v27
	v_add_f32_e32 v49, v49, v34
	v_fmamk_f32 v74, v15, 0xbf737871, v57
	v_fmac_f32_e32 v35, 0xbf167918, v27
	v_fmac_f32_e32 v64, 0x3f167918, v27
	v_add_f32_e32 v32, v25, v32
	v_fmac_f32_e32 v45, 0x3e9e377a, v77
	v_fmac_f32_e32 v57, 0x3f737871, v15
	v_add_f32_e32 v34, v11, v17
	v_fmac_f32_e32 v33, 0xbf167918, v15
	v_add_f32_e32 v42, v12, v14
	v_fmac_f32_e32 v62, 0x3f167918, v15
	ds_write2_b32 v0, v43, v13 offset0:100 offset1:125
	ds_write2_b32 v0, v46, v55 offset0:150 offset1:175
	;; [unrolled: 1-line block ×5, first 2 shown]
	ds_write_b32 v44, v45 offset:1400
	s_waitcnt lgkmcnt(0)
	s_barrier
	buffer_gl0_inv
	ds_read_b32 v17, v18
	ds_read2_b32 v[9:10], v0 offset0:125 offset1:150
	ds_read2_b32 v[7:8], v0 offset0:225 offset1:250
	;; [unrolled: 1-line block ×4, first 2 shown]
	ds_read_b32 v25, v20
	ds_read_b32 v27, v22
	;; [unrolled: 1-line block ×4, first 2 shown]
	ds_read2_b32 v[15:16], v23 offset0:69 offset1:94
	v_fmac_f32_e32 v31, 0xbf167918, v67
	v_fmac_f32_e32 v51, 0x3f167918, v67
	v_fmac_f32_e32 v59, 0xbf167918, v73
	v_fmac_f32_e32 v72, 0x3f167918, v73
	v_fmac_f32_e32 v74, 0xbf167918, v78
	v_fmac_f32_e32 v31, 0x3e9e377a, v52
	v_fmac_f32_e32 v57, 0x3f167918, v78
	v_fmac_f32_e32 v35, 0x3e9e377a, v56
	v_fmac_f32_e32 v64, 0x3e9e377a, v56
	v_fmac_f32_e32 v51, 0x3e9e377a, v52
	v_fmac_f32_e32 v59, 0x3e9e377a, v69
	v_fmac_f32_e32 v61, 0x3e9e377a, v75
	v_fmac_f32_e32 v72, 0x3e9e377a, v69
	v_fmac_f32_e32 v63, 0x3e9e377a, v75
	v_add_f32_e32 v5, v49, v36
	v_fmac_f32_e32 v74, 0x3e9e377a, v34
	v_fmac_f32_e32 v57, 0x3e9e377a, v34
	;; [unrolled: 1-line block ×4, first 2 shown]
	s_waitcnt lgkmcnt(0)
	s_barrier
	buffer_gl0_inv
	ds_write2_b32 v0, v29, v31 offset1:25
	ds_write2_b32 v0, v35, v64 offset0:50 offset1:75
	ds_write2_b32 v0, v51, v32 offset0:100 offset1:125
	;; [unrolled: 1-line block ×6, first 2 shown]
	ds_write_b32 v44, v57 offset:1400
	s_waitcnt lgkmcnt(0)
	s_barrier
	buffer_gl0_inv
	s_and_saveexec_b32 s0, vcc_lo
	s_cbranch_execz .LBB0_14
; %bb.13:
	v_lshlrev_b32_e32 v5, 1, v40
	v_mul_hi_u32 v45, 0x10624dd3, v37
	v_mul_lo_u32 v36, s4, v4
	v_mad_u64_u32 v[43:44], null, s4, v3, 0
	v_lshlrev_b64 v[28:29], 3, v[5:6]
	v_lshlrev_b32_e32 v5, 1, v39
	v_add_nc_u32_e32 v46, 25, v37
	v_add_nc_u32_e32 v53, 50, v37
	;; [unrolled: 1-line block ×4, first 2 shown]
	v_lshlrev_b64 v[32:33], 3, v[5:6]
	v_lshlrev_b32_e32 v5, 1, v41
	v_add_co_u32 v28, vcc_lo, s8, v28
	v_add_co_ci_u32_e32 v29, vcc_lo, s9, v29, vcc_lo
	v_lshlrev_b64 v[39:40], 3, v[5:6]
	v_add_co_u32 v32, vcc_lo, s8, v32
	v_add_co_ci_u32_e32 v33, vcc_lo, s9, v33, vcc_lo
	global_load_dwordx4 v[28:31], v[28:29], off offset:960
	v_add_co_u32 v39, vcc_lo, s8, v39
	global_load_dwordx4 v[32:35], v[32:33], off offset:960
	v_add_co_ci_u32_e32 v40, vcc_lo, s9, v40, vcc_lo
	v_mul_lo_u32 v5, s5, v3
	v_mul_hi_u32 v56, 0x10624dd3, v46
	v_lshrrev_b32_e32 v45, 3, v45
	global_load_dwordx4 v[39:42], v[39:40], off offset:960
	ds_read2_b32 v[3:4], v0 offset0:225 offset1:250
	ds_read2_b32 v[47:48], v23 offset0:69 offset1:94
	v_mul_hi_u32 v57, 0x10624dd3, v53
	v_mul_hi_u32 v58, 0x10624dd3, v54
	ds_read2_b32 v[51:52], v23 offset0:19 offset1:44
	v_add3_u32 v44, v44, v36, v5
	v_mul_hi_u32 v5, 0x10624dd3, v55
	v_mul_lo_u32 v23, 0x7d, v45
	v_lshrrev_b32_e32 v59, 3, v56
	v_lshlrev_b64 v[1:2], 3, v[1:2]
	v_lshlrev_b64 v[43:44], 3, v[43:44]
	v_lshrrev_b32_e32 v60, 3, v57
	v_lshrrev_b32_e32 v61, 3, v58
	ds_read2_b32 v[49:50], v0 offset0:175 offset1:200
	v_lshrrev_b32_e32 v62, 3, v5
	v_lshlrev_b32_e32 v5, 1, v38
	v_mul_lo_u32 v38, 0x7d, v59
	v_add_co_u32 v36, vcc_lo, s14, v43
	v_sub_nc_u32_e32 v63, v37, v23
	v_add_co_ci_u32_e32 v58, vcc_lo, s15, v44, vcc_lo
	v_mul_lo_u32 v45, 0x7d, v60
	v_mul_lo_u32 v56, 0x7d, v61
	;; [unrolled: 1-line block ×3, first 2 shown]
	v_lshlrev_b64 v[43:44], 3, v[5:6]
	v_lshlrev_b32_e32 v5, 1, v37
	v_add_co_u32 v66, vcc_lo, v36, v1
	v_mad_u64_u32 v[36:37], null, s2, v63, 0
	v_sub_nc_u32_e32 v23, v46, v38
	v_add_co_ci_u32_e32 v67, vcc_lo, v58, v2, vcc_lo
	v_sub_nc_u32_e32 v38, v53, v45
	v_sub_nc_u32_e32 v53, v54, v56
	;; [unrolled: 1-line block ×3, first 2 shown]
	v_mad_u64_u32 v[57:58], null, 0x177, v59, v[23:24]
	v_mov_b32_e32 v23, v37
	v_add_nc_u32_e32 v65, 0xfa, v63
	v_add_nc_u32_e32 v64, 0x7d, v63
	v_lshlrev_b64 v[1:2], 3, v[5:6]
	v_add_co_u32 v5, vcc_lo, s8, v43
	v_mad_u64_u32 v[55:56], null, s2, v65, 0
	v_add_co_ci_u32_e32 v6, vcc_lo, s9, v44, vcc_lo
	v_add_co_u32 v1, vcc_lo, s8, v1
	v_add_co_ci_u32_e32 v2, vcc_lo, s9, v2, vcc_lo
	global_load_dwordx4 v[43:46], v[5:6], off offset:960
	v_mad_u64_u32 v[5:6], null, s2, v64, 0
	s_waitcnt vmcnt(3)
	v_mul_f32_e32 v68, v16, v31
	s_waitcnt vmcnt(2)
	v_mul_f32_e32 v73, v14, v33
	v_mul_f32_e32 v71, v15, v35
	s_waitcnt lgkmcnt(2)
	v_fmac_f32_e32 v68, v30, v48
	s_waitcnt lgkmcnt(0)
	v_fmac_f32_e32 v73, v32, v50
	s_waitcnt vmcnt(1)
	v_mad_u64_u32 v[58:59], null, 0x177, v60, v[38:39]
	v_mad_u64_u32 v[37:38], null, s3, v63, v[23:24]
	v_mul_f32_e32 v38, v3, v29
	v_mul_f32_e32 v63, v7, v29
	v_mad_u64_u32 v[59:60], null, 0x177, v61, v[53:54]
	v_mad_u64_u32 v[53:54], null, 0x177, v62, v[54:55]
	v_fma_f32 v69, v7, v28, -v38
	v_fmac_f32_e32 v63, v28, v3
	v_mul_f32_e32 v3, v47, v35
	v_mul_f32_e32 v7, v50, v33
	;; [unrolled: 1-line block ×3, first 2 shown]
	v_mov_b32_e32 v23, v56
	v_mad_u64_u32 v[28:29], null, s2, v57, 0
	v_fma_f32 v72, v15, v34, -v3
	v_fma_f32 v74, v14, v32, -v7
	v_mul_f32_e32 v3, v49, v40
	v_mul_f32_e32 v7, v52, v42
	v_fma_f32 v70, v16, v30, -v54
	v_mad_u64_u32 v[30:31], null, s2, v58, 0
	v_add_nc_u32_e32 v16, 0x7d, v57
	v_mul_f32_e32 v75, v13, v40
	v_fma_f32 v76, v13, v39, -v3
	v_mul_f32_e32 v77, v12, v42
	v_fma_f32 v78, v12, v41, -v7
	v_mad_u64_u32 v[32:33], null, s2, v59, 0
	v_mad_u64_u32 v[12:13], null, s3, v65, v[23:24]
	v_mov_b32_e32 v3, v29
	v_fmac_f32_e32 v71, v34, v47
	v_add_nc_u32_e32 v54, 0xfa, v57
	v_fmac_f32_e32 v75, v39, v49
	v_mad_u64_u32 v[34:35], null, s2, v53, 0
	v_mad_u64_u32 v[38:39], null, s2, v16, 0
	;; [unrolled: 1-line block ×3, first 2 shown]
	v_mov_b32_e32 v7, v31
	v_mov_b32_e32 v56, v12
	v_mad_u64_u32 v[12:13], null, s3, v57, v[3:4]
	v_mov_b32_e32 v3, v33
	v_add_nc_u32_e32 v42, 0x7d, v58
	v_mad_u64_u32 v[47:48], null, s2, v54, 0
	v_mad_u64_u32 v[13:14], null, s3, v58, v[7:8]
	v_mov_b32_e32 v7, v35
	v_lshlrev_b64 v[14:15], 3, v[36:37]
	v_mad_u64_u32 v[35:36], null, s3, v59, v[3:4]
	v_mov_b32_e32 v3, v39
	v_mad_u64_u32 v[49:50], null, s2, v42, 0
	v_add_nc_u32_e32 v60, 0xfa, v58
	v_mov_b32_e32 v29, v12
	v_mad_u64_u32 v[39:40], null, s3, v16, v[3:4]
	v_mov_b32_e32 v3, v48
	v_mov_b32_e32 v31, v13
	v_fmac_f32_e32 v77, v41, v52
	v_add_nc_u32_e32 v61, 0x7d, v59
	v_add_nc_u32_e32 v23, 0x7d, v53
	v_mad_u64_u32 v[12:13], null, s3, v54, v[3:4]
	v_mov_b32_e32 v3, v50
	v_mad_u64_u32 v[36:37], null, s3, v53, v[7:8]
	v_add_nc_u32_e32 v7, 0xfa, v53
	v_mad_u64_u32 v[52:53], null, s2, v60, 0
	v_lshlrev_b64 v[5:6], 3, v[5:6]
	v_add_co_u32 v40, vcc_lo, v66, v14
	v_mad_u64_u32 v[13:14], null, s3, v42, v[3:4]
	v_add_co_ci_u32_e32 v41, vcc_lo, v67, v15, vcc_lo
	v_lshlrev_b64 v[14:15], 3, v[55:56]
	v_mad_u64_u32 v[54:55], null, s2, v61, 0
	v_add_co_u32 v5, vcc_lo, v66, v5
	v_mov_b32_e32 v3, v53
	v_add_co_ci_u32_e32 v6, vcc_lo, v67, v6, vcc_lo
	v_mov_b32_e32 v33, v35
	v_mov_b32_e32 v35, v36
	v_add_co_u32 v36, vcc_lo, v66, v14
	v_add_co_ci_u32_e32 v37, vcc_lo, v67, v15, vcc_lo
	v_mad_u64_u32 v[14:15], null, s3, v60, v[3:4]
	v_mov_b32_e32 v3, v55
	v_mov_b32_e32 v48, v12
	;; [unrolled: 1-line block ×3, first 2 shown]
	v_add_nc_u32_e32 v62, 0xfa, v59
	v_mad_u64_u32 v[58:59], null, s2, v23, 0
	v_mad_u64_u32 v[15:16], null, s3, v61, v[3:4]
	v_mov_b32_e32 v53, v14
	v_mad_u64_u32 v[56:57], null, s2, v62, 0
	v_add_f32_e32 v16, v63, v68
	v_sub_f32_e32 v65, v63, v68
	v_mov_b32_e32 v55, v15
	global_load_dwordx4 v[12:15], v[1:2], off offset:960
	v_mad_u64_u32 v[1:2], null, s2, v7, 0
	v_mov_b32_e32 v3, v57
	v_mad_u64_u32 v[60:61], null, s3, v62, v[3:4]
	v_mov_b32_e32 v3, v59
	v_mad_u64_u32 v[61:62], null, s3, v23, v[3:4]
	v_mad_u64_u32 v[2:3], null, s3, v7, v[2:3]
	ds_read_b32 v3, v22
	ds_read_b32 v7, v21
	v_mov_b32_e32 v57, v60
	v_lshlrev_b64 v[21:22], 3, v[28:29]
	v_lshlrev_b64 v[28:29], 3, v[30:31]
	;; [unrolled: 1-line block ×10, first 2 shown]
	ds_read_b32 v42, v20
	ds_read_b32 v64, v19
	v_mov_b32_e32 v59, v61
	v_add_f32_e32 v23, v69, v70
	v_add_co_u32 v21, vcc_lo, v66, v21
	v_add_co_ci_u32_e32 v22, vcc_lo, v67, v22, vcc_lo
	s_waitcnt lgkmcnt(3)
	v_add_f32_e32 v56, v63, v3
	v_fma_f32 v20, -0.5, v16, v3
	v_add_f32_e32 v3, v27, v69
	ds_read2_b32 v[62:63], v0 offset0:125 offset1:150
	v_fma_f32 v19, -0.5, v23, v27
	v_add_f32_e32 v57, v68, v56
	v_sub_f32_e32 v16, v69, v70
	v_add_f32_e32 v56, v3, v70
	v_add_f32_e32 v3, v73, v71
	;; [unrolled: 1-line block ×3, first 2 shown]
	ds_read_b32 v18, v18
	v_add_co_u32 v28, vcc_lo, v66, v28
	s_waitcnt lgkmcnt(4)
	v_fma_f32 v61, -0.5, v3, v7
	v_add_f32_e32 v3, v73, v7
	v_fma_f32 v60, -0.5, v23, v26
	v_add_f32_e32 v0, v26, v74
	v_sub_f32_e32 v23, v73, v71
	v_add_co_ci_u32_e32 v29, vcc_lo, v67, v29, vcc_lo
	v_add_f32_e32 v27, v71, v3
	s_waitcnt vmcnt(1)
	v_mul_f32_e32 v3, v51, v46
	v_mul_f32_e32 v46, v11, v46
	v_add_co_u32 v30, vcc_lo, v66, v30
	v_add_co_ci_u32_e32 v31, vcc_lo, v67, v31, vcc_lo
	v_fma_f32 v68, v11, v45, -v3
	v_fmamk_f32 v3, v16, 0x3f5db3d7, v20
	v_fmac_f32_e32 v20, 0xbf5db3d7, v16
	s_waitcnt lgkmcnt(1)
	v_mul_f32_e32 v11, v63, v44
	v_mul_f32_e32 v44, v10, v44
	v_add_f32_e32 v16, v75, v77
	v_sub_f32_e32 v7, v74, v72
	v_add_f32_e32 v26, v0, v72
	v_fmac_f32_e32 v46, v45, v51
	v_fma_f32 v51, v10, v43, -v11
	v_fmac_f32_e32 v44, v43, v63
	v_add_f32_e32 v63, v75, v42
	v_add_f32_e32 v10, v76, v78
	;; [unrolled: 1-line block ×3, first 2 shown]
	v_fma_f32 v11, -0.5, v16, v42
	v_fmamk_f32 v42, v23, 0xbf5db3d7, v60
	v_fmac_f32_e32 v60, 0x3f5db3d7, v23
	v_add_co_u32 v32, vcc_lo, v66, v32
	v_add_co_ci_u32_e32 v33, vcc_lo, v67, v33, vcc_lo
	v_add_co_u32 v34, vcc_lo, v66, v34
	v_fma_f32 v10, -0.5, v10, v25
	v_add_f32_e32 v16, v77, v63
	v_add_f32_e32 v25, v44, v64
	;; [unrolled: 1-line block ×3, first 2 shown]
	v_add_co_ci_u32_e32 v35, vcc_lo, v67, v35, vcc_lo
	v_add_co_u32 v38, vcc_lo, v66, v38
	v_add_co_ci_u32_e32 v39, vcc_lo, v67, v39, vcc_lo
	v_add_co_u32 v47, vcc_lo, v66, v47
	v_add_f32_e32 v25, v46, v25
	v_add_co_ci_u32_e32 v48, vcc_lo, v67, v48, vcc_lo
	v_add_co_u32 v49, vcc_lo, v66, v49
	v_add_co_ci_u32_e32 v50, vcc_lo, v67, v50, vcc_lo
	v_lshlrev_b64 v[0:1], 3, v[1:2]
	v_fmamk_f32 v2, v65, 0xbf5db3d7, v19
	v_fmac_f32_e32 v19, 0x3f5db3d7, v65
	v_sub_f32_e32 v65, v75, v77
	v_add_co_u32 v52, vcc_lo, v66, v52
	v_lshlrev_b64 v[58:59], 3, v[58:59]
	v_add_co_ci_u32_e32 v53, vcc_lo, v67, v53, vcc_lo
	v_sub_f32_e32 v45, v76, v78
	v_add_co_u32 v54, vcc_lo, v66, v54
	v_fmamk_f32 v43, v7, 0x3f5db3d7, v61
	v_fmac_f32_e32 v61, 0xbf5db3d7, v7
	v_fmamk_f32 v7, v65, 0xbf5db3d7, v10
	v_fmac_f32_e32 v10, 0x3f5db3d7, v65
	v_add_co_ci_u32_e32 v55, vcc_lo, v67, v55, vcc_lo
	s_waitcnt vmcnt(0)
	v_mul_f32_e32 v70, v62, v13
	v_mul_f32_e32 v71, v4, v15
	;; [unrolled: 1-line block ×4, first 2 shown]
	v_add_f32_e32 v15, v69, v78
	v_sub_f32_e32 v69, v51, v68
	v_add_f32_e32 v13, v44, v46
	v_fma_f32 v9, v9, v12, -v70
	v_sub_f32_e32 v70, v44, v46
	v_add_f32_e32 v44, v24, v51
	v_fma_f32 v51, v8, v14, -v71
	v_fmac_f32_e32 v72, v12, v62
	v_fmac_f32_e32 v23, v14, v4
	v_fma_f32 v12, -0.5, v63, v24
	v_add_f32_e32 v24, v44, v68
	v_add_f32_e32 v46, v9, v51
	v_sub_f32_e32 v4, v9, v51
	v_add_f32_e32 v14, v72, v23
	s_waitcnt lgkmcnt(0)
	v_add_f32_e32 v44, v72, v18
	v_add_f32_e32 v9, v17, v9
	v_sub_f32_e32 v68, v72, v23
	v_fma_f32 v17, -0.5, v46, v17
	v_fma_f32 v18, -0.5, v14, v18
	;; [unrolled: 1-line block ×3, first 2 shown]
	v_add_f32_e32 v63, v23, v44
	v_add_f32_e32 v62, v9, v51
	v_fmamk_f32 v64, v68, 0xbf5db3d7, v17
	v_fmamk_f32 v65, v4, 0x3f5db3d7, v18
	v_fmac_f32_e32 v18, 0xbf5db3d7, v4
	v_fmac_f32_e32 v17, 0x3f5db3d7, v68
	v_add_co_u32 v4, vcc_lo, v66, v58
	v_fmamk_f32 v8, v45, 0x3f5db3d7, v11
	v_fmac_f32_e32 v11, 0xbf5db3d7, v45
	v_fmamk_f32 v45, v69, 0x3f5db3d7, v13
	v_fmac_f32_e32 v13, 0xbf5db3d7, v69
	;; [unrolled: 2-line block ×3, first 2 shown]
	global_store_dwordx2 v[40:41], v[62:63], off
	global_store_dwordx2 v[5:6], v[17:18], off
	;; [unrolled: 1-line block ×10, first 2 shown]
	v_add_co_ci_u32_e32 v5, vcc_lo, v67, v59, vcc_lo
	v_add_co_u32 v0, vcc_lo, v66, v0
	v_add_co_ci_u32_e32 v1, vcc_lo, v67, v1, vcc_lo
	global_store_dwordx2 v[52:53], v[60:61], off
	global_store_dwordx2 v[54:55], v[42:43], off
	;; [unrolled: 1-line block ×5, first 2 shown]
.LBB0_14:
	s_endpgm
	.section	.rodata,"a",@progbits
	.p2align	6, 0x0
	.amdhsa_kernel fft_rtc_fwd_len375_factors_5_5_5_3_wgs_125_tpt_25_halfLds_sp_op_CI_CI_sbrr_dirReg
		.amdhsa_group_segment_fixed_size 0
		.amdhsa_private_segment_fixed_size 0
		.amdhsa_kernarg_size 104
		.amdhsa_user_sgpr_count 6
		.amdhsa_user_sgpr_private_segment_buffer 1
		.amdhsa_user_sgpr_dispatch_ptr 0
		.amdhsa_user_sgpr_queue_ptr 0
		.amdhsa_user_sgpr_kernarg_segment_ptr 1
		.amdhsa_user_sgpr_dispatch_id 0
		.amdhsa_user_sgpr_flat_scratch_init 0
		.amdhsa_user_sgpr_private_segment_size 0
		.amdhsa_wavefront_size32 1
		.amdhsa_uses_dynamic_stack 0
		.amdhsa_system_sgpr_private_segment_wavefront_offset 0
		.amdhsa_system_sgpr_workgroup_id_x 1
		.amdhsa_system_sgpr_workgroup_id_y 0
		.amdhsa_system_sgpr_workgroup_id_z 0
		.amdhsa_system_sgpr_workgroup_info 0
		.amdhsa_system_vgpr_workitem_id 0
		.amdhsa_next_free_vgpr 79
		.amdhsa_next_free_sgpr 31
		.amdhsa_reserve_vcc 1
		.amdhsa_reserve_flat_scratch 0
		.amdhsa_float_round_mode_32 0
		.amdhsa_float_round_mode_16_64 0
		.amdhsa_float_denorm_mode_32 3
		.amdhsa_float_denorm_mode_16_64 3
		.amdhsa_dx10_clamp 1
		.amdhsa_ieee_mode 1
		.amdhsa_fp16_overflow 0
		.amdhsa_workgroup_processor_mode 1
		.amdhsa_memory_ordered 1
		.amdhsa_forward_progress 0
		.amdhsa_shared_vgpr_count 0
		.amdhsa_exception_fp_ieee_invalid_op 0
		.amdhsa_exception_fp_denorm_src 0
		.amdhsa_exception_fp_ieee_div_zero 0
		.amdhsa_exception_fp_ieee_overflow 0
		.amdhsa_exception_fp_ieee_underflow 0
		.amdhsa_exception_fp_ieee_inexact 0
		.amdhsa_exception_int_div_zero 0
	.end_amdhsa_kernel
	.text
.Lfunc_end0:
	.size	fft_rtc_fwd_len375_factors_5_5_5_3_wgs_125_tpt_25_halfLds_sp_op_CI_CI_sbrr_dirReg, .Lfunc_end0-fft_rtc_fwd_len375_factors_5_5_5_3_wgs_125_tpt_25_halfLds_sp_op_CI_CI_sbrr_dirReg
                                        ; -- End function
	.section	.AMDGPU.csdata,"",@progbits
; Kernel info:
; codeLenInByte = 9424
; NumSgprs: 33
; NumVgprs: 79
; ScratchSize: 0
; MemoryBound: 0
; FloatMode: 240
; IeeeMode: 1
; LDSByteSize: 0 bytes/workgroup (compile time only)
; SGPRBlocks: 4
; VGPRBlocks: 9
; NumSGPRsForWavesPerEU: 33
; NumVGPRsForWavesPerEU: 79
; Occupancy: 12
; WaveLimiterHint : 1
; COMPUTE_PGM_RSRC2:SCRATCH_EN: 0
; COMPUTE_PGM_RSRC2:USER_SGPR: 6
; COMPUTE_PGM_RSRC2:TRAP_HANDLER: 0
; COMPUTE_PGM_RSRC2:TGID_X_EN: 1
; COMPUTE_PGM_RSRC2:TGID_Y_EN: 0
; COMPUTE_PGM_RSRC2:TGID_Z_EN: 0
; COMPUTE_PGM_RSRC2:TIDIG_COMP_CNT: 0
	.text
	.p2alignl 6, 3214868480
	.fill 48, 4, 3214868480
	.type	__hip_cuid_5473649e4133df6a,@object ; @__hip_cuid_5473649e4133df6a
	.section	.bss,"aw",@nobits
	.globl	__hip_cuid_5473649e4133df6a
__hip_cuid_5473649e4133df6a:
	.byte	0                               ; 0x0
	.size	__hip_cuid_5473649e4133df6a, 1

	.ident	"AMD clang version 19.0.0git (https://github.com/RadeonOpenCompute/llvm-project roc-6.4.0 25133 c7fe45cf4b819c5991fe208aaa96edf142730f1d)"
	.section	".note.GNU-stack","",@progbits
	.addrsig
	.addrsig_sym __hip_cuid_5473649e4133df6a
	.amdgpu_metadata
---
amdhsa.kernels:
  - .args:
      - .actual_access:  read_only
        .address_space:  global
        .offset:         0
        .size:           8
        .value_kind:     global_buffer
      - .offset:         8
        .size:           8
        .value_kind:     by_value
      - .actual_access:  read_only
        .address_space:  global
        .offset:         16
        .size:           8
        .value_kind:     global_buffer
      - .actual_access:  read_only
        .address_space:  global
        .offset:         24
        .size:           8
        .value_kind:     global_buffer
      - .actual_access:  read_only
        .address_space:  global
        .offset:         32
        .size:           8
        .value_kind:     global_buffer
      - .offset:         40
        .size:           8
        .value_kind:     by_value
      - .actual_access:  read_only
        .address_space:  global
        .offset:         48
        .size:           8
        .value_kind:     global_buffer
      - .actual_access:  read_only
        .address_space:  global
        .offset:         56
        .size:           8
        .value_kind:     global_buffer
      - .offset:         64
        .size:           4
        .value_kind:     by_value
      - .actual_access:  read_only
        .address_space:  global
        .offset:         72
        .size:           8
        .value_kind:     global_buffer
      - .actual_access:  read_only
        .address_space:  global
        .offset:         80
        .size:           8
        .value_kind:     global_buffer
      - .actual_access:  read_only
        .address_space:  global
        .offset:         88
        .size:           8
        .value_kind:     global_buffer
      - .actual_access:  write_only
        .address_space:  global
        .offset:         96
        .size:           8
        .value_kind:     global_buffer
    .group_segment_fixed_size: 0
    .kernarg_segment_align: 8
    .kernarg_segment_size: 104
    .language:       OpenCL C
    .language_version:
      - 2
      - 0
    .max_flat_workgroup_size: 125
    .name:           fft_rtc_fwd_len375_factors_5_5_5_3_wgs_125_tpt_25_halfLds_sp_op_CI_CI_sbrr_dirReg
    .private_segment_fixed_size: 0
    .sgpr_count:     33
    .sgpr_spill_count: 0
    .symbol:         fft_rtc_fwd_len375_factors_5_5_5_3_wgs_125_tpt_25_halfLds_sp_op_CI_CI_sbrr_dirReg.kd
    .uniform_work_group_size: 1
    .uses_dynamic_stack: false
    .vgpr_count:     79
    .vgpr_spill_count: 0
    .wavefront_size: 32
    .workgroup_processor_mode: 1
amdhsa.target:   amdgcn-amd-amdhsa--gfx1030
amdhsa.version:
  - 1
  - 2
...

	.end_amdgpu_metadata
